;; amdgpu-corpus repo=zjin-lcf/HeCBench kind=compiled arch=gfx1250 opt=O3
	.amdgcn_target "amdgcn-amd-amdhsa--gfx1250"
	.amdhsa_code_object_version 6
	.text
	.protected	_Z19kernel_gpupcg_setupPmS_imm ; -- Begin function _Z19kernel_gpupcg_setupPmS_imm
	.globl	_Z19kernel_gpupcg_setupPmS_imm
	.p2align	8
	.type	_Z19kernel_gpupcg_setupPmS_imm,@function
_Z19kernel_gpupcg_setupPmS_imm:         ; @_Z19kernel_gpupcg_setupPmS_imm
; %bb.0:
	s_clause 0x1
	s_load_b32 s2, s[0:1], 0x34
	s_load_b32 s3, s[0:1], 0x10
	s_bfe_u32 s4, ttmp6, 0x4000c
	s_and_b32 s5, ttmp6, 15
	s_add_co_i32 s4, s4, 1
	s_getreg_b32 s6, hwreg(HW_REG_IB_STS2, 6, 4)
	s_mul_i32 s4, ttmp9, s4
	s_delay_alu instid0(SALU_CYCLE_1) | instskip(SKIP_4) | instid1(SALU_CYCLE_1)
	s_add_co_i32 s5, s5, s4
	s_wait_kmcnt 0x0
	s_and_b32 s2, s2, 0xffff
	s_cmp_eq_u32 s6, 0
	s_cselect_b32 s4, ttmp9, s5
	v_mad_u32 v0, s4, s2, v0
	s_delay_alu instid0(VALU_DEP_1)
	v_cmp_gt_i32_e32 vcc_lo, s3, v0
	s_mov_b32 s3, 0
	s_and_saveexec_b32 s2, vcc_lo
	s_cbranch_execz .LBB0_2
; %bb.1:
	s_clause 0x1
	s_load_b128 s[4:7], s[0:1], 0x18
	s_load_b128 s[8:11], s[0:1], 0x0
	v_mov_b64_e32 v[2:3], 0
	v_ashrrev_i32_e32 v1, 31, v0
	s_wait_kmcnt 0x0
	s_mul_u64 s[6:7], s[6:7], 0xc6a4a7935bd1e995
	s_delay_alu instid0(SALU_CYCLE_1) | instskip(NEXT) | instid1(SALU_CYCLE_1)
	s_lshr_b32 s2, s7, 15
	s_xor_b64 s[6:7], s[2:3], s[6:7]
	s_delay_alu instid0(SALU_CYCLE_1) | instskip(NEXT) | instid1(SALU_CYCLE_1)
	s_mul_u64 s[6:7], s[6:7], 0xc6a4a7935bd1e995
	s_xor_b64 s[6:7], s[6:7], 0x35253c9ade8f4c87
	s_delay_alu instid0(SALU_CYCLE_1) | instskip(NEXT) | instid1(SALU_CYCLE_1)
	s_mul_u64 s[0:1], s[6:7], 0xc6a4a7935bd1e995
	s_lshr_b32 s2, s1, 15
	s_delay_alu instid0(SALU_CYCLE_1) | instskip(NEXT) | instid1(SALU_CYCLE_1)
	s_xor_b64 s[0:1], s[2:3], s[0:1]
	s_mul_u64 s[0:1], s[0:1], 0xc6a4a7935bd1e995
	s_delay_alu instid0(SALU_CYCLE_1) | instskip(NEXT) | instid1(SALU_CYCLE_1)
	s_lshr_b32 s2, s1, 15
	s_xor_b64 s[0:1], s[2:3], s[0:1]
	s_delay_alu instid0(SALU_CYCLE_1) | instskip(NEXT) | instid1(SALU_CYCLE_1)
	s_lshl_b64 s[0:1], s[0:1], 1
	s_or_b64 s[0:1], s[0:1], 1
	s_delay_alu instid0(SALU_CYCLE_1)
	v_mov_b64_e32 v[4:5], s[0:1]
	s_clause 0x2
	global_store_b64 v0, v[2:3], s[8:9] scale_offset
	global_store_b64 v0, v[4:5], s[10:11] scale_offset
	global_load_b64 v[2:3], v0, s[8:9] scale_offset
	s_wait_xcnt 0x1
	v_add_nc_u64_e32 v[4:5], s[4:5], v[0:1]
	s_delay_alu instid0(VALU_DEP_1) | instskip(NEXT) | instid1(VALU_DEP_1)
	v_mul_u64_e32 v[4:5], 0xc6a4a7935bd1e995, v[4:5]
	v_lshrrev_b32_e32 v1, 15, v5
	s_delay_alu instid0(VALU_DEP_1) | instskip(NEXT) | instid1(VALU_DEP_1)
	v_xor_b32_e32 v4, v1, v4
	v_mul_u64_e32 v[4:5], 0xc6a4a7935bd1e995, v[4:5]
	s_delay_alu instid0(VALU_DEP_1) | instskip(NEXT) | instid1(VALU_DEP_2)
	v_xor_b32_e32 v5, 0x35253c9a, v5
	v_xor_b32_e32 v4, 0xde8f4cb9, v4
	s_delay_alu instid0(VALU_DEP_1) | instskip(NEXT) | instid1(VALU_DEP_1)
	v_mul_u64_e32 v[4:5], 0xc6a4a7935bd1e995, v[4:5]
	v_lshrrev_b32_e32 v1, 15, v5
	s_delay_alu instid0(VALU_DEP_1) | instskip(NEXT) | instid1(VALU_DEP_1)
	v_xor_b32_e32 v4, v1, v4
	v_mul_u64_e32 v[4:5], 0xc6a4a7935bd1e995, v[4:5]
	s_delay_alu instid0(VALU_DEP_1) | instskip(NEXT) | instid1(VALU_DEP_1)
	v_lshrrev_b32_e32 v1, 15, v5
	v_xor_b32_e32 v4, v1, v4
	s_delay_alu instid0(VALU_DEP_1) | instskip(SKIP_1) | instid1(VALU_DEP_1)
	v_add_nc_u64_e32 v[4:5], s[0:1], v[4:5]
	s_wait_loadcnt 0x0
	v_mad_nc_u64_u32 v[4:5], 0x4c957f2d, v2, v[4:5]
	s_delay_alu instid0(VALU_DEP_1) | instskip(NEXT) | instid1(VALU_DEP_1)
	v_mad_u32 v1, 0x4c957f2d, v3, v5
	v_mad_u32 v5, 0x5851f42d, v2, v1
	s_clause 0x1
	global_store_b64 v0, v[4:5], s[8:9] scale_offset
	global_load_b64 v[2:3], v0, s[10:11] scale_offset
	s_wait_loadcnt 0x0
	v_mad_nc_u64_u32 v[2:3], 0x4c957f2d, v4, v[2:3]
	s_delay_alu instid0(VALU_DEP_1) | instskip(NEXT) | instid1(VALU_DEP_1)
	v_mad_u32 v1, 0x4c957f2d, v5, v3
	v_mad_u32 v3, 0x5851f42d, v4, v1
	global_store_b64 v0, v[2:3], s[8:9] scale_offset
.LBB0_2:
	s_endpgm
	.section	.rodata,"a",@progbits
	.p2align	6, 0x0
	.amdhsa_kernel _Z19kernel_gpupcg_setupPmS_imm
		.amdhsa_group_segment_fixed_size 0
		.amdhsa_private_segment_fixed_size 0
		.amdhsa_kernarg_size 296
		.amdhsa_user_sgpr_count 2
		.amdhsa_user_sgpr_dispatch_ptr 0
		.amdhsa_user_sgpr_queue_ptr 0
		.amdhsa_user_sgpr_kernarg_segment_ptr 1
		.amdhsa_user_sgpr_dispatch_id 0
		.amdhsa_user_sgpr_kernarg_preload_length 0
		.amdhsa_user_sgpr_kernarg_preload_offset 0
		.amdhsa_user_sgpr_private_segment_size 0
		.amdhsa_wavefront_size32 1
		.amdhsa_uses_dynamic_stack 0
		.amdhsa_enable_private_segment 0
		.amdhsa_system_sgpr_workgroup_id_x 1
		.amdhsa_system_sgpr_workgroup_id_y 0
		.amdhsa_system_sgpr_workgroup_id_z 0
		.amdhsa_system_sgpr_workgroup_info 0
		.amdhsa_system_vgpr_workitem_id 0
		.amdhsa_next_free_vgpr 6
		.amdhsa_next_free_sgpr 12
		.amdhsa_named_barrier_count 0
		.amdhsa_reserve_vcc 1
		.amdhsa_float_round_mode_32 0
		.amdhsa_float_round_mode_16_64 0
		.amdhsa_float_denorm_mode_32 3
		.amdhsa_float_denorm_mode_16_64 3
		.amdhsa_fp16_overflow 0
		.amdhsa_memory_ordered 1
		.amdhsa_forward_progress 1
		.amdhsa_inst_pref_size 5
		.amdhsa_round_robin_scheduling 0
		.amdhsa_exception_fp_ieee_invalid_op 0
		.amdhsa_exception_fp_denorm_src 0
		.amdhsa_exception_fp_ieee_div_zero 0
		.amdhsa_exception_fp_ieee_overflow 0
		.amdhsa_exception_fp_ieee_underflow 0
		.amdhsa_exception_fp_ieee_inexact 0
		.amdhsa_exception_int_div_zero 0
	.end_amdhsa_kernel
	.text
.Lfunc_end0:
	.size	_Z19kernel_gpupcg_setupPmS_imm, .Lfunc_end0-_Z19kernel_gpupcg_setupPmS_imm
                                        ; -- End function
	.set _Z19kernel_gpupcg_setupPmS_imm.num_vgpr, 6
	.set _Z19kernel_gpupcg_setupPmS_imm.num_agpr, 0
	.set _Z19kernel_gpupcg_setupPmS_imm.numbered_sgpr, 12
	.set _Z19kernel_gpupcg_setupPmS_imm.num_named_barrier, 0
	.set _Z19kernel_gpupcg_setupPmS_imm.private_seg_size, 0
	.set _Z19kernel_gpupcg_setupPmS_imm.uses_vcc, 1
	.set _Z19kernel_gpupcg_setupPmS_imm.uses_flat_scratch, 0
	.set _Z19kernel_gpupcg_setupPmS_imm.has_dyn_sized_stack, 0
	.set _Z19kernel_gpupcg_setupPmS_imm.has_recursion, 0
	.set _Z19kernel_gpupcg_setupPmS_imm.has_indirect_call, 0
	.section	.AMDGPU.csdata,"",@progbits
; Kernel info:
; codeLenInByte = 556
; TotalNumSgprs: 14
; NumVgprs: 6
; ScratchSize: 0
; MemoryBound: 0
; FloatMode: 240
; IeeeMode: 1
; LDSByteSize: 0 bytes/workgroup (compile time only)
; SGPRBlocks: 0
; VGPRBlocks: 0
; NumSGPRsForWavesPerEU: 14
; NumVGPRsForWavesPerEU: 6
; NamedBarCnt: 0
; Occupancy: 16
; WaveLimiterHint : 0
; COMPUTE_PGM_RSRC2:SCRATCH_EN: 0
; COMPUTE_PGM_RSRC2:USER_SGPR: 2
; COMPUTE_PGM_RSRC2:TRAP_HANDLER: 0
; COMPUTE_PGM_RSRC2:TGID_X_EN: 1
; COMPUTE_PGM_RSRC2:TGID_Y_EN: 0
; COMPUTE_PGM_RSRC2:TGID_Z_EN: 0
; COMPUTE_PGM_RSRC2:TIDIG_COMP_CNT: 0
	.text
	.protected	_Z17kernel_metropolisiiPiPKiffPmS2_i ; -- Begin function _Z17kernel_metropolisiiPiPKiffPmS2_i
	.globl	_Z17kernel_metropolisiiPiPKiffPmS2_i
	.p2align	8
	.type	_Z17kernel_metropolisiiPiPKiffPmS2_i,@function
_Z17kernel_metropolisiiPiPKiffPmS2_i:   ; @_Z17kernel_metropolisiiPiPKiffPmS2_i
; %bb.0:
	s_bfe_u32 s2, ttmp6, 0x40014
	s_lshr_b32 s3, ttmp7, 16
	s_add_co_i32 s2, s2, 1
	s_bfe_u32 s4, ttmp6, 0x40008
	s_mul_i32 s2, s3, s2
	s_getreg_b32 s5, hwreg(HW_REG_IB_STS2, 6, 4)
	s_add_co_i32 s4, s4, s2
	s_cmp_eq_u32 s5, 0
	s_load_b32 s8, s[0:1], 0x30
	s_cselect_b32 s11, s3, s4
	s_bfe_u32 s2, ttmp6, 0x40010
	s_and_b32 s3, ttmp7, 0xffff
	s_add_co_i32 s2, s2, 1
	s_bfe_u32 s4, ttmp6, 0x40004
	s_mul_i32 s2, s3, s2
	v_bfe_u32 v15, v0, 20, 10
	s_add_co_i32 s4, s4, s2
	s_load_b32 s2, s[0:1], 0x4
	s_cmp_eq_u32 s5, 0
	v_bfe_u32 v16, v0, 10, 10
	s_cselect_b32 s10, s3, s4
	s_bfe_u32 s3, ttmp6, 0x4000c
	s_and_b32 s4, ttmp6, 15
	s_add_co_i32 s3, s3, 1
	v_and_b32_e32 v17, 0x3ff, v0
	s_mul_i32 s3, ttmp9, s3
	v_mul_u32_u24_e32 v20, 0xb4, v15
	s_add_co_i32 s3, s4, s3
	s_cmp_eq_u32 s5, 0
	s_load_b128 s[4:7], s[0:1], 0x8
	s_cselect_b32 s3, ttmp9, s3
	s_lshl_b32 s12, s11, 2
	s_delay_alu instid0(SALU_CYCLE_1)
	v_dual_lshlrev_b32 v13, 1, v16 :: v_dual_add_nc_u32 v1, s12, v15
	s_add_co_i32 s9, s3, s11
	v_mul_u32_u24_e32 v23, 36, v16
	s_wait_kmcnt 0x0
	s_add_co_i32 s9, s9, s8
	s_lshl_b32 s8, s10, 4
	v_mul_lo_u32 v5, s2, v1
	s_lshl_b32 s9, s9, 3
	v_lshlrev_b32_e32 v14, 2, v20
	s_and_b32 s9, s9, 8
	s_mov_b32 s13, 0
	s_or_b32 s9, s9, s8
	s_lshl_b32 s8, s3, 4
	v_lshl_add_u32 v24, v23, 2, v14
	v_add_nc_u32_e32 v19, s8, v17
	s_delay_alu instid0(VALU_DEP_4) | instskip(SKIP_1) | instid1(VALU_DEP_4)
	v_mul_lo_u32 v18, v5, s2
	v_add_nc_u32_e32 v1, s9, v13
	v_lshl_add_u32 v12, v17, 2, v24
	s_delay_alu instid0(VALU_DEP_2) | instskip(NEXT) | instid1(VALU_DEP_1)
	v_mul_lo_u32 v21, v1, s2
	v_dual_add_nc_u32 v6, v21, v18 :: v_dual_bitop2_b32 v2, 1, v1 bitop3:0x54
	s_delay_alu instid0(VALU_DEP_1) | instskip(NEXT) | instid1(VALU_DEP_1)
	v_mul_lo_u32 v22, v2, s2
	v_add_nc_u32_e32 v4, v22, v18
	s_delay_alu instid0(VALU_DEP_1) | instskip(SKIP_4) | instid1(VALU_DEP_1)
	v_dual_add_nc_u32 v10, v6, v19 :: v_dual_add_nc_u32 v8, v4, v19
	s_clause 0x1
	global_load_b32 v7, v10, s[4:5] scale_offset
	global_load_b32 v25, v8, s[4:5] scale_offset
	v_dual_ashrrev_i32 v11, 31, v10 :: v_dual_ashrrev_i32 v9, 31, v8
	v_lshl_add_u64 v[0:1], v[10:11], 2, s[4:5]
	s_wait_xcnt 0x1
	v_lshl_add_u64 v[10:11], v[10:11], 2, s[6:7]
	s_delay_alu instid0(VALU_DEP_3)
	v_lshl_add_u64 v[26:27], v[8:9], 2, s[6:7]
	v_lshl_add_u64 v[2:3], v[8:9], 2, s[4:5]
	s_mov_b32 s6, exec_lo
	s_wait_loadcnt 0x0
	ds_store_2addr_b32 v12, v7, v25 offset0:199 offset1:217
	s_clause 0x1
	global_load_b32 v9, v[10:11], off
	global_load_b32 v8, v[26:27], off
                                        ; implicit-def: $vgpr7
                                        ; implicit-def: $vgpr10
	s_wait_xcnt 0x0
	v_cmpx_lt_i32_e32 2, v16
	s_xor_b32 s6, exec_lo, s6
	s_cbranch_execnz .LBB1_31
; %bb.1:
	s_and_not1_saveexec_b32 s6, s6
	s_cbranch_execnz .LBB1_34
.LBB1_2:
	s_or_b32 exec_lo, exec_lo, s6
	s_and_saveexec_b32 s6, s13
	s_cbranch_execz .LBB1_4
.LBB1_3:
	s_delay_alu instid0(VALU_DEP_1)
	v_add_nc_u32_e32 v5, v7, v19
	v_lshl_add_u32 v7, v17, 2, v10
	global_load_b32 v5, v5, s[4:5] scale_offset
	s_wait_loadcnt 0x0
	ds_store_b32 v7, v5 offset:4
.LBB1_4:
	s_or_b32 exec_lo, exec_lo, s6
	s_delay_alu instid0(SALU_CYCLE_1)
	s_mov_b32 s6, exec_lo
	v_cmpx_lt_i32_e32 14, v17
	s_xor_b32 s6, exec_lo, s6
	s_cbranch_execz .LBB1_11
; %bb.5:
	s_mov_b32 s7, exec_lo
	v_cmpx_eq_u32_e32 15, v17
	s_cbranch_execz .LBB1_10
; %bb.6:
	s_load_b32 s9, s[0:1], 0x38
	s_wait_kmcnt 0x0
	s_add_co_i32 s9, s9, -1
	s_delay_alu instid0(SALU_CYCLE_1)
	s_cmp_lg_u32 s3, s9
	s_mov_b32 s9, -1
	s_cbranch_scc0 .LBB1_8
; %bb.7:
	v_dual_ashrrev_i32 v7, 31, v6 :: v_dual_ashrrev_i32 v5, 31, v4
	s_ashr_i32 s9, s8, 31
	s_delay_alu instid0(VALU_DEP_1) | instid1(SALU_CYCLE_1)
	v_add_nc_u64_e32 v[10:11], s[8:9], v[6:7]
	s_delay_alu instid0(VALU_DEP_2) | instskip(SKIP_1) | instid1(VALU_DEP_2)
	v_add_nc_u64_e32 v[26:27], s[8:9], v[4:5]
	s_mov_b32 s9, 0
	v_lshl_add_u64 v[10:11], v[10:11], 2, s[4:5]
	s_delay_alu instid0(VALU_DEP_2)
	v_lshl_add_u64 v[26:27], v[26:27], 2, s[4:5]
	s_clause 0x1
	global_load_b32 v5, v[10:11], off offset:64
	global_load_b32 v7, v[26:27], off offset:64
	s_wait_loadcnt 0x0
	ds_store_2addr_b32 v24, v5, v7 offset0:215 offset1:233
.LBB1_8:
	s_and_not1_b32 vcc_lo, exec_lo, s9
	s_cbranch_vccnz .LBB1_10
; %bb.9:
	s_clause 0x1
	global_load_b32 v5, v6, s[4:5] scale_offset
	global_load_b32 v7, v4, s[4:5] scale_offset
	s_wait_loadcnt 0x0
	ds_store_2addr_b32 v24, v5, v7 offset0:215 offset1:233
.LBB1_10:
	s_or_b32 exec_lo, exec_lo, s7
                                        ; implicit-def: $vgpr6
                                        ; implicit-def: $vgpr4
                                        ; implicit-def: $vgpr24
.LBB1_11:
	s_and_not1_saveexec_b32 s6, s6
	s_cbranch_execz .LBB1_17
; %bb.12:
	s_mov_b32 s7, exec_lo
	v_cmpx_eq_u32_e32 0, v17
	s_cbranch_execz .LBB1_16
; %bb.13:
	v_dual_ashrrev_i32 v7, 31, v6 :: v_dual_ashrrev_i32 v5, 31, v4
	s_cmp_lg_u32 s3, 0
	s_cbranch_scc0 .LBB1_37
; %bb.14:
	s_ashr_i32 s9, s8, 31
	s_delay_alu instid0(VALU_DEP_1) | instid1(SALU_CYCLE_1)
	v_add_nc_u64_e32 v[10:11], s[8:9], v[6:7]
	v_add_nc_u64_e32 v[26:27], s[8:9], v[4:5]
	s_delay_alu instid0(VALU_DEP_2) | instskip(NEXT) | instid1(VALU_DEP_2)
	v_lshl_add_u64 v[10:11], v[10:11], 2, s[4:5]
	v_lshl_add_u64 v[26:27], v[26:27], 2, s[4:5]
	s_clause 0x1
	global_load_b32 v25, v[10:11], off offset:-4
	global_load_b32 v28, v[26:27], off offset:-4
	s_wait_loadcnt 0x0
	ds_store_2addr_b32 v24, v25, v28 offset0:198 offset1:216
	s_cbranch_execnz .LBB1_16
.LBB1_15:
	s_ashr_i32 s3, s2, 31
	s_delay_alu instid0(SALU_CYCLE_1) | instskip(SKIP_1) | instid1(VALU_DEP_2)
	v_add_nc_u64_e32 v[6:7], s[2:3], v[6:7]
	v_add_nc_u64_e32 v[4:5], s[2:3], v[4:5]
	v_lshl_add_u64 v[6:7], v[6:7], 2, s[4:5]
	s_delay_alu instid0(VALU_DEP_2)
	v_lshl_add_u64 v[4:5], v[4:5], 2, s[4:5]
	s_clause 0x1
	global_load_b32 v10, v[6:7], off offset:-4
	global_load_b32 v11, v[4:5], off offset:-4
	s_wait_loadcnt 0x0
	ds_store_2addr_b32 v24, v10, v11 offset0:198 offset1:216
.LBB1_16:
	s_or_b32 exec_lo, exec_lo, s7
.LBB1_17:
	s_delay_alu instid0(SALU_CYCLE_1) | instskip(NEXT) | instid1(SALU_CYCLE_1)
	s_or_b32 exec_lo, exec_lo, s6
	s_mov_b32 s3, exec_lo
	v_cmpx_lt_i32_e32 2, v15
	s_xor_b32 s3, exec_lo, s3
	s_cbranch_execz .LBB1_24
; %bb.18:
	s_mov_b32 s6, exec_lo
	v_cmpx_eq_u32_e32 3, v15
	s_cbranch_execz .LBB1_23
; %bb.19:
	s_load_b32 s7, s[0:1], 0x40
	s_wait_kmcnt 0x0
	s_add_co_i32 s7, s7, -1
	s_delay_alu instid0(SALU_CYCLE_1)
	s_cmp_lg_u32 s11, s7
	s_mov_b32 s7, -1
	s_cbranch_scc0 .LBB1_21
; %bb.20:
	s_add_co_i32 s7, s12, 4
	s_mul_i32 s8, s2, s2
	s_delay_alu instid0(SALU_CYCLE_1) | instskip(SKIP_1) | instid1(VALU_DEP_1)
	v_mad_u32 v4, s8, s7, v19
	s_mov_b32 s7, 0
	v_dual_add_nc_u32 v5, v4, v21 :: v_dual_add_nc_u32 v4, v4, v22
	s_clause 0x1
	global_load_b32 v6, v5, s[4:5] scale_offset
	global_load_b32 v7, v4, s[4:5] scale_offset
	s_wait_xcnt 0x0
	v_lshlrev_b32_e32 v4, 2, v17
	s_delay_alu instid0(VALU_DEP_1) | instskip(NEXT) | instid1(VALU_DEP_1)
	v_lshl_add_u32 v4, v23, 2, v4
	v_add_nc_u32_e32 v4, 0xc00, v4
	s_wait_loadcnt 0x0
	ds_store_2addr_b32 v4, v6, v7 offset0:151 offset1:169
.LBB1_21:
	s_and_not1_b32 vcc_lo, exec_lo, s7
	s_cbranch_vccnz .LBB1_23
; %bb.22:
	v_dual_add_nc_u32 v4, v21, v19 :: v_dual_add_nc_u32 v5, v22, v19
	s_clause 0x1
	global_load_b32 v6, v4, s[4:5] scale_offset
	global_load_b32 v7, v5, s[4:5] scale_offset
	s_wait_xcnt 0x1
	v_lshlrev_b32_e32 v4, 2, v17
	s_delay_alu instid0(VALU_DEP_1) | instskip(NEXT) | instid1(VALU_DEP_1)
	v_lshl_add_u32 v4, v23, 2, v4
	v_add_nc_u32_e32 v4, 0xc00, v4
	s_wait_loadcnt 0x0
	ds_store_2addr_b32 v4, v6, v7 offset0:151 offset1:169
.LBB1_23:
	s_or_b32 exec_lo, exec_lo, s6
                                        ; implicit-def: $vgpr21
                                        ; implicit-def: $vgpr22
                                        ; implicit-def: $vgpr23
.LBB1_24:
	s_and_not1_saveexec_b32 s3, s3
	s_cbranch_execz .LBB1_30
; %bb.25:
	s_mov_b32 s6, exec_lo
	v_cmpx_eq_u32_e32 0, v15
	s_cbranch_execz .LBB1_29
; %bb.26:
	v_lshlrev_b32_e32 v4, 2, v17
	s_cmp_lg_u32 s11, 0
	s_mul_i32 s7, s2, s2
	s_delay_alu instid0(VALU_DEP_1)
	v_lshl_add_u32 v4, v23, 2, v4
	s_cbranch_scc0 .LBB1_38
; %bb.27:
	s_add_co_i32 s12, s12, -1
	s_delay_alu instid0(SALU_CYCLE_1) | instskip(NEXT) | instid1(VALU_DEP_1)
	v_mad_u32 v5, s7, s12, v19
	v_dual_add_nc_u32 v6, v5, v21 :: v_dual_add_nc_u32 v5, v5, v22
	s_clause 0x1
	global_load_b32 v7, v6, s[4:5] scale_offset
	global_load_b32 v10, v5, s[4:5] scale_offset
	s_wait_loadcnt 0x0
	ds_store_2addr_b32 v4, v7, v10 offset0:19 offset1:37
	s_cbranch_execnz .LBB1_29
.LBB1_28:
	s_add_co_i32 s8, s2, -1
	s_delay_alu instid0(SALU_CYCLE_1) | instskip(NEXT) | instid1(VALU_DEP_1)
	v_mad_u32 v5, s7, s8, v19
	v_dual_add_nc_u32 v6, v5, v21 :: v_dual_add_nc_u32 v5, v5, v22
	s_clause 0x1
	global_load_b32 v7, v6, s[4:5] scale_offset
	global_load_b32 v10, v5, s[4:5] scale_offset
	s_wait_loadcnt 0x0
	ds_store_2addr_b32 v4, v7, v10 offset0:19 offset1:37
.LBB1_29:
	s_or_b32 exec_lo, exec_lo, s6
.LBB1_30:
	s_delay_alu instid0(SALU_CYCLE_1)
	s_or_b32 exec_lo, exec_lo, s3
	v_dual_ashrrev_i32 v4, 31, v18 :: v_dual_add_nc_u32 v15, v17, v15
	v_lshl_add_u32 v5, s10, 2, v16
	s_load_b128 s[4:7], s[0:1], 0x20
	s_wait_loadcnt 0x1
	v_cvt_f32_i32_e32 v9, v9
	v_dual_lshrrev_b32 v4, 30, v4 :: v_dual_lshlrev_b32 v22, 2, v17
	v_and_or_b32 v10, v15, 1, v13
	v_mul_lo_u32 v5, v5, s2
	s_wait_xcnt 0x0
	s_load_b64 s[0:1], s[0:1], 0x18
	v_add_nc_u32_e32 v20, 0xb4, v20
	v_bitop3_b32 v13, v15, 1, v13 bitop3:0x26
	v_mul_u32_u24_e32 v11, 18, v10
	v_add_nc_u32_e32 v4, v18, v4
	s_wait_loadcnt 0x0
	v_cvt_f32_i32_e32 v8, v8
	v_mad_u32_u24 v10, v10, 18, v20
	s_delay_alu instid0(VALU_DEP_3) | instskip(NEXT) | instid1(VALU_DEP_2)
	v_dual_lshlrev_b32 v11, 2, v11 :: v_dual_ashrrev_i32 v4, 2, v4
	v_lshl_add_u32 v23, v10, 2, v22
	s_delay_alu instid0(VALU_DEP_2) | instskip(NEXT) | instid1(VALU_DEP_3)
	v_add3_u32 v16, v14, v11, v22
	v_add3_u32 v21, v5, v19, v4
	s_wait_kmcnt 0x0
	s_clause 0x1
	global_load_b64 v[6:7], v21, s[4:5] scale_offset
	global_load_b64 v[4:5], v21, s[6:7] scale_offset
	s_wait_loadcnt_dscnt 0x0
	s_barrier_signal -1
	s_barrier_wait -1
	ds_load_2addr_b32 v[10:11], v23 offset0:18 offset1:19
	ds_load_b32 v24, v23 offset:80
	v_add_nc_u32_e32 v18, 0x200, v16
	ds_load_2addr_b32 v[16:17], v16 offset0:19 offset1:181
	ds_load_2addr_b32 v[18:19], v18 offset0:89 offset1:251
	s_wait_dscnt 0x2
	v_add_nc_u32_e32 v10, v24, v10
	s_wait_dscnt 0x0
	s_delay_alu instid0(VALU_DEP_1) | instskip(NEXT) | instid1(VALU_DEP_1)
	v_add3_u32 v10, v10, v17, v18
	v_add3_u32 v10, v10, v16, v19
	v_cvt_f32_i32_e32 v16, v11
	s_delay_alu instid0(VALU_DEP_2) | instskip(NEXT) | instid1(VALU_DEP_1)
	v_cvt_f32_i32_e32 v10, v10
	v_fmac_f32_e32 v10, s0, v9
	s_delay_alu instid0(VALU_DEP_1) | instskip(NEXT) | instid1(VALU_DEP_1)
	v_mul_f32_e32 v9, v10, v16
	v_mul_f32_e32 v9, s1, v9
	s_delay_alu instid0(VALU_DEP_1) | instskip(SKIP_2) | instid1(VALU_DEP_3)
	v_mul_f32_e32 v17, 0x3fb8aa3b, v9
	v_cmp_ngt_f32_e32 vcc_lo, 0xc2ce8ed0, v9
	v_fmaak_f32 v10, v10, v16, 0xad2febff
	v_fma_f32 v18, 0x3fb8aa3b, v9, -v17
	v_rndne_f32_e32 v19, v17
	s_delay_alu instid0(VALU_DEP_1) | instskip(NEXT) | instid1(VALU_DEP_1)
	v_dual_fmac_f32 v18, 0x32a5705f, v9 :: v_dual_sub_f32 v17, v17, v19
	v_add_f32_e32 v17, v17, v18
	v_cvt_i32_f32_e32 v18, v19
	v_lshrrev_b32_e32 v19, 13, v7
	s_delay_alu instid0(VALU_DEP_3) | instskip(SKIP_1) | instid1(VALU_DEP_1)
	v_exp_f32_e32 v17, v17
	v_alignbit_b32 v24, v7, v6, 27
	v_xor_b32_e32 v19, v19, v24
	s_delay_alu instid0(TRANS32_DEP_1) | instskip(NEXT) | instid1(VALU_DEP_1)
	v_ldexp_f32 v17, v17, v18
	v_dual_cndmask_b32 v17, 0, v17 :: v_dual_lshrrev_b32 v18, 27, v7
	s_delay_alu instid0(VALU_DEP_1) | instskip(SKIP_1) | instid1(VALU_DEP_2)
	v_alignbit_b32 v18, v19, v19, v18
	v_cmp_nlt_f32_e32 vcc_lo, 0x42b17218, v9
	v_cvt_f32_u32_e32 v15, v18
	s_delay_alu instid0(VALU_DEP_4) | instskip(SKIP_2) | instid1(VALU_DEP_3)
	v_cndmask_b32_e32 v9, 0x7f800000, v17, vcc_lo
	v_mul_u32_u24_e32 v17, 18, v13
	v_mad_u32_u24 v13, v13, 18, v20
	v_fma_f32 v9, 0x2f800000, v15, -v9
	s_delay_alu instid0(VALU_DEP_3) | instskip(NEXT) | instid1(VALU_DEP_3)
	v_lshlrev_b32_e32 v15, 2, v17
	v_lshl_add_u32 v13, v13, 2, v22
	s_delay_alu instid0(VALU_DEP_3) | instskip(NEXT) | instid1(VALU_DEP_3)
	v_dual_sub_nc_u32 v10, 0, v11 :: v_dual_bitop2_b32 v9, v9, v10 bitop3:0x54
	v_add3_u32 v14, v14, v15, v22
	s_delay_alu instid0(VALU_DEP_2) | instskip(NEXT) | instid1(VALU_DEP_2)
	v_cmp_gt_i32_e32 vcc_lo, 0, v9
	v_add_nc_u32_e32 v16, 0x200, v14
	s_delay_alu instid0(VALU_DEP_4)
	v_cndmask_b32_e32 v9, v11, v10, vcc_lo
	ds_store_b32 v23, v9 offset:76
	s_wait_dscnt 0x0
	s_barrier_signal -1
	s_barrier_wait -1
	ds_load_2addr_b32 v[10:11], v13 offset0:18 offset1:19
	ds_load_b32 v9, v13 offset:80
	ds_load_2addr_b32 v[14:15], v14 offset0:19 offset1:181
	ds_load_2addr_b32 v[16:17], v16 offset0:89 offset1:251
	s_wait_dscnt 0x2
	v_add_nc_u32_e32 v9, v9, v10
	s_wait_dscnt 0x0
	s_delay_alu instid0(VALU_DEP_1) | instskip(NEXT) | instid1(VALU_DEP_1)
	v_add3_u32 v9, v9, v15, v16
	v_add3_u32 v9, v9, v14, v17
	v_cvt_f32_i32_e32 v14, v11
	s_delay_alu instid0(VALU_DEP_2) | instskip(NEXT) | instid1(VALU_DEP_1)
	v_cvt_f32_i32_e32 v10, v9
	v_fmac_f32_e32 v10, s0, v8
	v_mad_nc_u64_u32 v[8:9], 0x4c957f2d, v6, v[4:5]
	s_delay_alu instid0(VALU_DEP_2) | instskip(NEXT) | instid1(VALU_DEP_1)
	v_mul_f32_e32 v15, v10, v14
	v_mul_f32_e32 v15, s1, v15
	s_delay_alu instid0(VALU_DEP_3) | instskip(NEXT) | instid1(VALU_DEP_2)
	v_mad_u32 v7, 0x4c957f2d, v7, v9
	v_mul_f32_e32 v9, 0x3fb8aa3b, v15
	v_cmp_ngt_f32_e32 vcc_lo, 0xc2ce8ed0, v15
	s_delay_alu instid0(VALU_DEP_2) | instskip(SKIP_2) | instid1(VALU_DEP_3)
	v_fma_f32 v16, 0x3fb8aa3b, v15, -v9
	v_rndne_f32_e32 v17, v9
	v_mad_u32 v18, 0x5851f42d, v6, v7
	v_fmac_f32_e32 v16, 0x32a5705f, v15
	s_delay_alu instid0(VALU_DEP_2) | instskip(NEXT) | instid1(VALU_DEP_1)
	v_dual_sub_f32 v6, v9, v17 :: v_dual_lshrrev_b32 v7, 13, v18
	v_add_f32_e32 v6, v6, v16
	v_alignbit_b32 v9, v18, v8, 27
	v_cvt_i32_f32_e32 v16, v17
	v_lshrrev_b32_e32 v17, 27, v18
	s_delay_alu instid0(VALU_DEP_4) | instskip(SKIP_1) | instid1(TRANS32_DEP_1)
	v_exp_f32_e32 v6, v6
	v_nop
	v_ldexp_f32 v6, v6, v16
	v_xor_b32_e32 v7, v7, v9
	v_fmaak_f32 v9, v10, v14, 0xad2febff
	s_delay_alu instid0(VALU_DEP_3) | instskip(NEXT) | instid1(VALU_DEP_3)
	v_cndmask_b32_e32 v6, 0, v6, vcc_lo
	v_alignbit_b32 v7, v7, v7, v17
	v_cmp_nlt_f32_e32 vcc_lo, 0x42b17218, v15
	s_delay_alu instid0(VALU_DEP_2) | instskip(NEXT) | instid1(VALU_DEP_4)
	v_cvt_f32_u32_e32 v7, v7
	v_cndmask_b32_e32 v6, 0x7f800000, v6, vcc_lo
	s_delay_alu instid0(VALU_DEP_1) | instskip(SKIP_1) | instid1(VALU_DEP_2)
	v_fma_f32 v10, 0x2f800000, v7, -v6
	v_mad_nc_u64_u32 v[6:7], 0x4c957f2d, v8, v[4:5]
	v_dual_sub_nc_u32 v10, 0, v11 :: v_dual_bitop2_b32 v9, v10, v9 bitop3:0x54
	s_delay_alu instid0(VALU_DEP_1) | instskip(NEXT) | instid1(VALU_DEP_3)
	v_cmp_gt_i32_e32 vcc_lo, 0, v9
	v_mad_u32 v7, 0x4c957f2d, v18, v7
	s_delay_alu instid0(VALU_DEP_3)
	v_cndmask_b32_e32 v9, v11, v10, vcc_lo
	ds_store_b32 v13, v9 offset:76
	s_wait_dscnt 0x0
	s_barrier_signal -1
	s_barrier_wait -1
	ds_load_2addr_b32 v[10:11], v12 offset0:199 offset1:217
	v_mad_u32 v7, 0x5851f42d, v8, v7
	global_store_b64 v21, v[6:7], s[4:5] scale_offset
	s_wait_dscnt 0x0
	s_clause 0x1
	global_store_b32 v[0:1], v10, off
	global_store_b32 v[2:3], v11, off
	global_store_b64 v21, v[4:5], s[6:7] scale_offset
	s_endpgm
.LBB1_31:
	s_mov_b32 s7, 0
	s_mov_b32 s13, exec_lo
                                        ; implicit-def: $vgpr7
                                        ; implicit-def: $vgpr10
	v_cmpx_eq_u32_e32 3, v16
	s_cbranch_execz .LBB1_33
; %bb.32:
	v_add3_u32 v5, v5, s9, 8
	s_add_co_i32 s14, s2, -8
	s_mov_b32 s7, exec_lo
	s_cmp_eq_u32 s9, s14
	v_add_nc_u32_e32 v10, 0x558, v14
	v_mul_lo_u32 v5, v5, s2
	s_cselect_b32 vcc_lo, -1, 0
	s_delay_alu instid0(VALU_DEP_1)
	v_cndmask_b32_e32 v7, v5, v18, vcc_lo
.LBB1_33:
	s_or_b32 exec_lo, exec_lo, s13
	s_delay_alu instid0(SALU_CYCLE_1)
	s_and_b32 s13, s7, exec_lo
                                        ; implicit-def: $vgpr5
	s_and_not1_saveexec_b32 s6, s6
	s_cbranch_execz .LBB1_2
.LBB1_34:
	s_mov_b32 s7, s13
	s_mov_b32 s14, exec_lo
                                        ; implicit-def: $vgpr7
                                        ; implicit-def: $vgpr10
	v_cmpx_eq_u32_e32 0, v16
; %bb.35:
	s_cmp_eq_u32 s9, 0
	v_add_nc_u32_e32 v10, 0x2d0, v14
	s_cselect_b32 s7, s2, s9
	s_delay_alu instid0(SALU_CYCLE_1) | instskip(SKIP_1) | instid1(VALU_DEP_1)
	v_add3_u32 v5, v5, s7, -1
	s_or_b32 s7, s13, exec_lo
	v_mul_lo_u32 v7, v5, s2
; %bb.36:
	s_or_b32 exec_lo, exec_lo, s14
	s_delay_alu instid0(SALU_CYCLE_1) | instskip(SKIP_1) | instid1(SALU_CYCLE_1)
	s_and_not1_b32 s9, s13, exec_lo
	s_and_b32 s7, s7, exec_lo
	s_or_b32 s13, s9, s7
	s_or_b32 exec_lo, exec_lo, s6
	s_and_saveexec_b32 s6, s13
	s_cbranch_execnz .LBB1_3
	s_branch .LBB1_4
.LBB1_37:
	s_branch .LBB1_15
.LBB1_38:
	s_branch .LBB1_28
	.section	.rodata,"a",@progbits
	.p2align	6, 0x0
	.amdhsa_kernel _Z17kernel_metropolisiiPiPKiffPmS2_i
		.amdhsa_group_segment_fixed_size 4320
		.amdhsa_private_segment_fixed_size 0
		.amdhsa_kernarg_size 312
		.amdhsa_user_sgpr_count 2
		.amdhsa_user_sgpr_dispatch_ptr 0
		.amdhsa_user_sgpr_queue_ptr 0
		.amdhsa_user_sgpr_kernarg_segment_ptr 1
		.amdhsa_user_sgpr_dispatch_id 0
		.amdhsa_user_sgpr_kernarg_preload_length 0
		.amdhsa_user_sgpr_kernarg_preload_offset 0
		.amdhsa_user_sgpr_private_segment_size 0
		.amdhsa_wavefront_size32 1
		.amdhsa_uses_dynamic_stack 0
		.amdhsa_enable_private_segment 0
		.amdhsa_system_sgpr_workgroup_id_x 1
		.amdhsa_system_sgpr_workgroup_id_y 1
		.amdhsa_system_sgpr_workgroup_id_z 1
		.amdhsa_system_sgpr_workgroup_info 0
		.amdhsa_system_vgpr_workitem_id 2
		.amdhsa_next_free_vgpr 29
		.amdhsa_next_free_sgpr 15
		.amdhsa_named_barrier_count 0
		.amdhsa_reserve_vcc 1
		.amdhsa_float_round_mode_32 0
		.amdhsa_float_round_mode_16_64 0
		.amdhsa_float_denorm_mode_32 3
		.amdhsa_float_denorm_mode_16_64 3
		.amdhsa_fp16_overflow 0
		.amdhsa_memory_ordered 1
		.amdhsa_forward_progress 1
		.amdhsa_inst_pref_size 21
		.amdhsa_round_robin_scheduling 0
		.amdhsa_exception_fp_ieee_invalid_op 0
		.amdhsa_exception_fp_denorm_src 0
		.amdhsa_exception_fp_ieee_div_zero 0
		.amdhsa_exception_fp_ieee_overflow 0
		.amdhsa_exception_fp_ieee_underflow 0
		.amdhsa_exception_fp_ieee_inexact 0
		.amdhsa_exception_int_div_zero 0
	.end_amdhsa_kernel
	.text
.Lfunc_end1:
	.size	_Z17kernel_metropolisiiPiPKiffPmS2_i, .Lfunc_end1-_Z17kernel_metropolisiiPiPKiffPmS2_i
                                        ; -- End function
	.set _Z17kernel_metropolisiiPiPKiffPmS2_i.num_vgpr, 29
	.set _Z17kernel_metropolisiiPiPKiffPmS2_i.num_agpr, 0
	.set _Z17kernel_metropolisiiPiPKiffPmS2_i.numbered_sgpr, 15
	.set _Z17kernel_metropolisiiPiPKiffPmS2_i.num_named_barrier, 0
	.set _Z17kernel_metropolisiiPiPKiffPmS2_i.private_seg_size, 0
	.set _Z17kernel_metropolisiiPiPKiffPmS2_i.uses_vcc, 1
	.set _Z17kernel_metropolisiiPiPKiffPmS2_i.uses_flat_scratch, 0
	.set _Z17kernel_metropolisiiPiPKiffPmS2_i.has_dyn_sized_stack, 0
	.set _Z17kernel_metropolisiiPiPKiffPmS2_i.has_recursion, 0
	.set _Z17kernel_metropolisiiPiPKiffPmS2_i.has_indirect_call, 0
	.section	.AMDGPU.csdata,"",@progbits
; Kernel info:
; codeLenInByte = 2608
; TotalNumSgprs: 17
; NumVgprs: 29
; ScratchSize: 0
; MemoryBound: 0
; FloatMode: 240
; IeeeMode: 1
; LDSByteSize: 4320 bytes/workgroup (compile time only)
; SGPRBlocks: 0
; VGPRBlocks: 1
; NumSGPRsForWavesPerEU: 17
; NumVGPRsForWavesPerEU: 29
; NamedBarCnt: 0
; Occupancy: 16
; WaveLimiterHint : 0
; COMPUTE_PGM_RSRC2:SCRATCH_EN: 0
; COMPUTE_PGM_RSRC2:USER_SGPR: 2
; COMPUTE_PGM_RSRC2:TRAP_HANDLER: 0
; COMPUTE_PGM_RSRC2:TGID_X_EN: 1
; COMPUTE_PGM_RSRC2:TGID_Y_EN: 1
; COMPUTE_PGM_RSRC2:TGID_Z_EN: 1
; COMPUTE_PGM_RSRC2:TIDIG_COMP_CNT: 2
	.text
	.protected	_Z26kernel_reset_random_gpupcgPiiPmS0_ ; -- Begin function _Z26kernel_reset_random_gpupcgPiiPmS0_
	.globl	_Z26kernel_reset_random_gpupcgPiiPmS0_
	.p2align	8
	.type	_Z26kernel_reset_random_gpupcgPiiPmS0_,@function
_Z26kernel_reset_random_gpupcgPiiPmS0_: ; @_Z26kernel_reset_random_gpupcgPiiPmS0_
; %bb.0:
	s_clause 0x1
	s_load_b32 s2, s[0:1], 0x2c
	s_load_b32 s8, s[0:1], 0x8
	s_bfe_u32 s3, ttmp6, 0x4000c
	s_and_b32 s4, ttmp6, 15
	s_add_co_i32 s3, s3, 1
	s_getreg_b32 s5, hwreg(HW_REG_IB_STS2, 6, 4)
	s_mul_i32 s3, ttmp9, s3
	s_delay_alu instid0(SALU_CYCLE_1) | instskip(SKIP_4) | instid1(SALU_CYCLE_1)
	s_add_co_i32 s4, s4, s3
	s_wait_kmcnt 0x0
	s_and_b32 s2, s2, 0xffff
	s_cmp_eq_u32 s5, 0
	s_cselect_b32 s3, ttmp9, s4
	v_mad_u32 v0, s3, s2, v0
	s_ashr_i32 s2, s8, 31
	s_mov_b32 s3, exec_lo
	s_lshr_b32 s2, s2, 30
	s_delay_alu instid0(SALU_CYCLE_1) | instskip(NEXT) | instid1(SALU_CYCLE_1)
	s_add_co_i32 s2, s8, s2
	s_ashr_i32 s2, s2, 2
	s_delay_alu instid0(VALU_DEP_1) | instid1(SALU_CYCLE_1)
	v_cmpx_gt_i32_e64 s2, v0
	s_cbranch_execz .LBB2_2
; %bb.1:
	s_load_b128 s[4:7], s[0:1], 0x10
	s_lshr_b32 s9, s8, 31
	s_wait_xcnt 0x0
	s_load_b64 s[0:1], s[0:1], 0x0
	s_mul_i32 s10, s8, 3
	s_add_co_i32 s8, s8, s9
	s_ashr_i32 s9, s10, 31
	s_ashr_i32 s3, s2, 31
	s_lshr_b32 s11, s9, 30
	s_ashr_i32 s8, s8, 1
	s_add_co_i32 s10, s10, s11
	s_ashr_i32 s9, s8, 31
	s_ashr_i32 s10, s10, 2
	s_wait_kmcnt 0x0
	s_clause 0x1
	global_load_b64 v[4:5], v0, s[4:5] scale_offset
	global_load_b64 v[2:3], v0, s[6:7] scale_offset
	s_ashr_i32 s11, s10, 31
	s_wait_loadcnt 0x1
	v_lshrrev_b32_e32 v12, 13, v5
	s_wait_loadcnt 0x0
	v_mad_nc_u64_u32 v[6:7], 0x4c957f2d, v4, v[2:3]
	s_delay_alu instid0(VALU_DEP_1) | instskip(NEXT) | instid1(VALU_DEP_2)
	v_mad_u32 v1, 0x4c957f2d, v5, v7
	v_mad_nc_u64_u32 v[8:9], 0x4c957f2d, v6, v[2:3]
	s_delay_alu instid0(VALU_DEP_2) | instskip(NEXT) | instid1(VALU_DEP_2)
	v_mad_u32 v7, 0x5851f42d, v4, v1
	v_mad_nc_u64_u32 v[10:11], 0x4c957f2d, v8, v[2:3]
	v_alignbit_b32 v4, v5, v4, 27
	s_delay_alu instid0(VALU_DEP_1) | instskip(NEXT) | instid1(VALU_DEP_4)
	v_dual_lshrrev_b32 v5, 27, v5 :: v_dual_bitop2_b32 v4, v12, v4 bitop3:0x14
	v_mad_u32 v1, 0x4c957f2d, v7, v9
	v_lshrrev_b32_e32 v12, 13, v7
	s_delay_alu instid0(VALU_DEP_3) | instskip(SKIP_1) | instid1(VALU_DEP_4)
	v_alignbit_b32 v4, v4, v4, v5
	v_lshrrev_b32_e32 v5, 27, v7
	v_mad_u32 v9, 0x5851f42d, v6, v1
	v_ashrrev_i32_e32 v1, 31, v0
	v_alignbit_b32 v6, v7, v6, 27
	s_delay_alu instid0(VALU_DEP_1) | instskip(SKIP_1) | instid1(VALU_DEP_2)
	v_dual_lshrrev_b32 v7, 13, v9 :: v_dual_bitop2_b32 v6, v12, v6 bitop3:0x14
	v_mad_u32 v11, 0x4c957f2d, v9, v11
	v_alignbit_b32 v6, v6, v6, v5
	s_delay_alu instid0(VALU_DEP_1) | instskip(NEXT) | instid1(VALU_DEP_3)
	v_cvt_f32_u32_e32 v6, v6
	v_mad_u32 v11, 0x5851f42d, v8, v11
	v_alignbit_b32 v8, v9, v8, 27
	s_delay_alu instid0(VALU_DEP_3) | instskip(NEXT) | instid1(VALU_DEP_2)
	v_fma_f32 v6, 0x2f800000, v6, 0.5
	v_dual_lshrrev_b32 v9, 27, v9 :: v_dual_bitop2_b32 v7, v7, v8 bitop3:0x14
	s_delay_alu instid0(VALU_DEP_4) | instskip(SKIP_1) | instid1(VALU_DEP_3)
	v_dual_lshrrev_b32 v8, 27, v11 :: v_dual_lshrrev_b32 v12, 13, v11
	v_alignbit_b32 v13, v11, v10, 27
	v_alignbit_b32 v7, v7, v7, v9
	s_delay_alu instid0(VALU_DEP_2) | instskip(SKIP_2) | instid1(VALU_DEP_4)
	v_xor_b32_e32 v12, v12, v13
	v_cvt_f32_u32_e32 v13, v4
	v_mad_nc_u64_u32 v[4:5], 0x4c957f2d, v10, v[2:3]
	v_cvt_f32_u32_e32 v7, v7
	s_delay_alu instid0(VALU_DEP_4) | instskip(NEXT) | instid1(VALU_DEP_4)
	v_alignbit_b32 v8, v12, v12, v8
	v_fma_f32 v9, 0x2f800000, v13, 0.5
	v_cvt_i32_f32_e32 v12, v6
	s_delay_alu instid0(VALU_DEP_4)
	v_fma_f32 v13, 0x2f800000, v7, 0.5
	v_lshl_add_u64 v[6:7], v[0:1], 2, s[0:1]
	v_cvt_f32_u32_e32 v8, v8
	v_cvt_i32_f32_e32 v9, v9
	v_cvt_f32_i32_e32 v12, v12
	v_mad_u32 v5, 0x4c957f2d, v11, v5
	v_cvt_i32_f32_e32 v11, v13
	v_fma_f32 v8, 0x2f800000, v8, 0.5
	v_cvt_f32_i32_e32 v1, v9
	v_fma_f32 v12, v12, -2.0, 1.0
	s_delay_alu instid0(VALU_DEP_4) | instskip(NEXT) | instid1(VALU_DEP_4)
	v_cvt_f32_i32_e32 v14, v11
	v_cvt_i32_f32_e32 v13, v8
	s_delay_alu instid0(VALU_DEP_4)
	v_fma_f32 v1, v1, -2.0, 1.0
	v_lshl_add_u64 v[8:9], s[2:3], 2, v[6:7]
	v_cvt_i32_f32_e32 v12, v12
	v_mad_u32 v5, 0x5851f42d, v10, v5
	v_cvt_f32_i32_e32 v13, v13
	v_fma_f32 v14, v14, -2.0, 1.0
	v_cvt_i32_f32_e32 v1, v1
	v_lshl_add_u64 v[10:11], s[8:9], 2, v[6:7]
	v_lshl_add_u64 v[6:7], s[10:11], 2, v[6:7]
	v_fma_f32 v13, v13, -2.0, 1.0
	v_cvt_i32_f32_e32 v14, v14
	s_delay_alu instid0(VALU_DEP_2)
	v_cvt_i32_f32_e32 v13, v13
	s_clause 0x1
	global_store_b32 v0, v1, s[0:1] scale_offset
	global_store_b32 v[8:9], v12, off
	global_store_b64 v0, v[4:5], s[4:5] scale_offset
	s_clause 0x1
	global_store_b32 v[10:11], v14, off
	global_store_b32 v[6:7], v13, off
	global_store_b64 v0, v[2:3], s[6:7] scale_offset
.LBB2_2:
	s_endpgm
	.section	.rodata,"a",@progbits
	.p2align	6, 0x0
	.amdhsa_kernel _Z26kernel_reset_random_gpupcgPiiPmS0_
		.amdhsa_group_segment_fixed_size 0
		.amdhsa_private_segment_fixed_size 0
		.amdhsa_kernarg_size 288
		.amdhsa_user_sgpr_count 2
		.amdhsa_user_sgpr_dispatch_ptr 0
		.amdhsa_user_sgpr_queue_ptr 0
		.amdhsa_user_sgpr_kernarg_segment_ptr 1
		.amdhsa_user_sgpr_dispatch_id 0
		.amdhsa_user_sgpr_kernarg_preload_length 0
		.amdhsa_user_sgpr_kernarg_preload_offset 0
		.amdhsa_user_sgpr_private_segment_size 0
		.amdhsa_wavefront_size32 1
		.amdhsa_uses_dynamic_stack 0
		.amdhsa_enable_private_segment 0
		.amdhsa_system_sgpr_workgroup_id_x 1
		.amdhsa_system_sgpr_workgroup_id_y 0
		.amdhsa_system_sgpr_workgroup_id_z 0
		.amdhsa_system_sgpr_workgroup_info 0
		.amdhsa_system_vgpr_workitem_id 0
		.amdhsa_next_free_vgpr 15
		.amdhsa_next_free_sgpr 12
		.amdhsa_named_barrier_count 0
		.amdhsa_reserve_vcc 0
		.amdhsa_float_round_mode_32 0
		.amdhsa_float_round_mode_16_64 0
		.amdhsa_float_denorm_mode_32 3
		.amdhsa_float_denorm_mode_16_64 3
		.amdhsa_fp16_overflow 0
		.amdhsa_memory_ordered 1
		.amdhsa_forward_progress 1
		.amdhsa_inst_pref_size 7
		.amdhsa_round_robin_scheduling 0
		.amdhsa_exception_fp_ieee_invalid_op 0
		.amdhsa_exception_fp_denorm_src 0
		.amdhsa_exception_fp_ieee_div_zero 0
		.amdhsa_exception_fp_ieee_overflow 0
		.amdhsa_exception_fp_ieee_underflow 0
		.amdhsa_exception_fp_ieee_inexact 0
		.amdhsa_exception_int_div_zero 0
	.end_amdhsa_kernel
	.text
.Lfunc_end2:
	.size	_Z26kernel_reset_random_gpupcgPiiPmS0_, .Lfunc_end2-_Z26kernel_reset_random_gpupcgPiiPmS0_
                                        ; -- End function
	.set _Z26kernel_reset_random_gpupcgPiiPmS0_.num_vgpr, 15
	.set _Z26kernel_reset_random_gpupcgPiiPmS0_.num_agpr, 0
	.set _Z26kernel_reset_random_gpupcgPiiPmS0_.numbered_sgpr, 12
	.set _Z26kernel_reset_random_gpupcgPiiPmS0_.num_named_barrier, 0
	.set _Z26kernel_reset_random_gpupcgPiiPmS0_.private_seg_size, 0
	.set _Z26kernel_reset_random_gpupcgPiiPmS0_.uses_vcc, 0
	.set _Z26kernel_reset_random_gpupcgPiiPmS0_.uses_flat_scratch, 0
	.set _Z26kernel_reset_random_gpupcgPiiPmS0_.has_dyn_sized_stack, 0
	.set _Z26kernel_reset_random_gpupcgPiiPmS0_.has_recursion, 0
	.set _Z26kernel_reset_random_gpupcgPiiPmS0_.has_indirect_call, 0
	.section	.AMDGPU.csdata,"",@progbits
; Kernel info:
; codeLenInByte = 816
; TotalNumSgprs: 12
; NumVgprs: 15
; ScratchSize: 0
; MemoryBound: 0
; FloatMode: 240
; IeeeMode: 1
; LDSByteSize: 0 bytes/workgroup (compile time only)
; SGPRBlocks: 0
; VGPRBlocks: 0
; NumSGPRsForWavesPerEU: 12
; NumVGPRsForWavesPerEU: 15
; NamedBarCnt: 0
; Occupancy: 16
; WaveLimiterHint : 0
; COMPUTE_PGM_RSRC2:SCRATCH_EN: 0
; COMPUTE_PGM_RSRC2:USER_SGPR: 2
; COMPUTE_PGM_RSRC2:TRAP_HANDLER: 0
; COMPUTE_PGM_RSRC2:TGID_X_EN: 1
; COMPUTE_PGM_RSRC2:TGID_Y_EN: 0
; COMPUTE_PGM_RSRC2:TGID_Z_EN: 0
; COMPUTE_PGM_RSRC2:TIDIG_COMP_CNT: 0
	.section	.text._Z12kernel_resetIiEvPT_iS0_,"axG",@progbits,_Z12kernel_resetIiEvPT_iS0_,comdat
	.protected	_Z12kernel_resetIiEvPT_iS0_ ; -- Begin function _Z12kernel_resetIiEvPT_iS0_
	.globl	_Z12kernel_resetIiEvPT_iS0_
	.p2align	8
	.type	_Z12kernel_resetIiEvPT_iS0_,@function
_Z12kernel_resetIiEvPT_iS0_:            ; @_Z12kernel_resetIiEvPT_iS0_
; %bb.0:
	s_clause 0x1
	s_load_b32 s4, s[0:1], 0x1c
	s_load_b64 s[2:3], s[0:1], 0x8
	s_bfe_u32 s5, ttmp6, 0x4000c
	s_and_b32 s6, ttmp6, 15
	s_add_co_i32 s5, s5, 1
	s_getreg_b32 s7, hwreg(HW_REG_IB_STS2, 6, 4)
	s_mul_i32 s5, ttmp9, s5
	s_delay_alu instid0(SALU_CYCLE_1) | instskip(SKIP_4) | instid1(SALU_CYCLE_1)
	s_add_co_i32 s6, s6, s5
	s_wait_kmcnt 0x0
	s_and_b32 s4, s4, 0xffff
	s_cmp_eq_u32 s7, 0
	s_cselect_b32 s5, ttmp9, s6
	v_mad_u32 v0, s5, s4, v0
	s_delay_alu instid0(VALU_DEP_1)
	v_cmp_gt_i32_e32 vcc_lo, s2, v0
	s_and_saveexec_b32 s2, vcc_lo
	s_cbranch_execz .LBB3_2
; %bb.1:
	s_load_b64 s[0:1], s[0:1], 0x0
	v_mov_b32_e32 v1, s3
	s_wait_kmcnt 0x0
	global_store_b32 v0, v1, s[0:1] scale_offset
.LBB3_2:
	s_endpgm
	.section	.rodata,"a",@progbits
	.p2align	6, 0x0
	.amdhsa_kernel _Z12kernel_resetIiEvPT_iS0_
		.amdhsa_group_segment_fixed_size 0
		.amdhsa_private_segment_fixed_size 0
		.amdhsa_kernarg_size 272
		.amdhsa_user_sgpr_count 2
		.amdhsa_user_sgpr_dispatch_ptr 0
		.amdhsa_user_sgpr_queue_ptr 0
		.amdhsa_user_sgpr_kernarg_segment_ptr 1
		.amdhsa_user_sgpr_dispatch_id 0
		.amdhsa_user_sgpr_kernarg_preload_length 0
		.amdhsa_user_sgpr_kernarg_preload_offset 0
		.amdhsa_user_sgpr_private_segment_size 0
		.amdhsa_wavefront_size32 1
		.amdhsa_uses_dynamic_stack 0
		.amdhsa_enable_private_segment 0
		.amdhsa_system_sgpr_workgroup_id_x 1
		.amdhsa_system_sgpr_workgroup_id_y 0
		.amdhsa_system_sgpr_workgroup_id_z 0
		.amdhsa_system_sgpr_workgroup_info 0
		.amdhsa_system_vgpr_workitem_id 0
		.amdhsa_next_free_vgpr 2
		.amdhsa_next_free_sgpr 8
		.amdhsa_named_barrier_count 0
		.amdhsa_reserve_vcc 1
		.amdhsa_float_round_mode_32 0
		.amdhsa_float_round_mode_16_64 0
		.amdhsa_float_denorm_mode_32 3
		.amdhsa_float_denorm_mode_16_64 3
		.amdhsa_fp16_overflow 0
		.amdhsa_memory_ordered 1
		.amdhsa_forward_progress 1
		.amdhsa_inst_pref_size 1
		.amdhsa_round_robin_scheduling 0
		.amdhsa_exception_fp_ieee_invalid_op 0
		.amdhsa_exception_fp_denorm_src 0
		.amdhsa_exception_fp_ieee_div_zero 0
		.amdhsa_exception_fp_ieee_overflow 0
		.amdhsa_exception_fp_ieee_underflow 0
		.amdhsa_exception_fp_ieee_inexact 0
		.amdhsa_exception_int_div_zero 0
	.end_amdhsa_kernel
	.section	.text._Z12kernel_resetIiEvPT_iS0_,"axG",@progbits,_Z12kernel_resetIiEvPT_iS0_,comdat
.Lfunc_end3:
	.size	_Z12kernel_resetIiEvPT_iS0_, .Lfunc_end3-_Z12kernel_resetIiEvPT_iS0_
                                        ; -- End function
	.set _Z12kernel_resetIiEvPT_iS0_.num_vgpr, 2
	.set _Z12kernel_resetIiEvPT_iS0_.num_agpr, 0
	.set _Z12kernel_resetIiEvPT_iS0_.numbered_sgpr, 8
	.set _Z12kernel_resetIiEvPT_iS0_.num_named_barrier, 0
	.set _Z12kernel_resetIiEvPT_iS0_.private_seg_size, 0
	.set _Z12kernel_resetIiEvPT_iS0_.uses_vcc, 1
	.set _Z12kernel_resetIiEvPT_iS0_.uses_flat_scratch, 0
	.set _Z12kernel_resetIiEvPT_iS0_.has_dyn_sized_stack, 0
	.set _Z12kernel_resetIiEvPT_iS0_.has_recursion, 0
	.set _Z12kernel_resetIiEvPT_iS0_.has_indirect_call, 0
	.section	.AMDGPU.csdata,"",@progbits
; Kernel info:
; codeLenInByte = 128
; TotalNumSgprs: 10
; NumVgprs: 2
; ScratchSize: 0
; MemoryBound: 0
; FloatMode: 240
; IeeeMode: 1
; LDSByteSize: 0 bytes/workgroup (compile time only)
; SGPRBlocks: 0
; VGPRBlocks: 0
; NumSGPRsForWavesPerEU: 10
; NumVGPRsForWavesPerEU: 2
; NamedBarCnt: 0
; Occupancy: 16
; WaveLimiterHint : 0
; COMPUTE_PGM_RSRC2:SCRATCH_EN: 0
; COMPUTE_PGM_RSRC2:USER_SGPR: 2
; COMPUTE_PGM_RSRC2:TRAP_HANDLER: 0
; COMPUTE_PGM_RSRC2:TGID_X_EN: 1
; COMPUTE_PGM_RSRC2:TGID_Y_EN: 0
; COMPUTE_PGM_RSRC2:TGID_Z_EN: 0
; COMPUTE_PGM_RSRC2:TIDIG_COMP_CNT: 0
	.section	.text._Z12kernel_resetIfEvPT_iS0_,"axG",@progbits,_Z12kernel_resetIfEvPT_iS0_,comdat
	.protected	_Z12kernel_resetIfEvPT_iS0_ ; -- Begin function _Z12kernel_resetIfEvPT_iS0_
	.globl	_Z12kernel_resetIfEvPT_iS0_
	.p2align	8
	.type	_Z12kernel_resetIfEvPT_iS0_,@function
_Z12kernel_resetIfEvPT_iS0_:            ; @_Z12kernel_resetIfEvPT_iS0_
; %bb.0:
	s_clause 0x1
	s_load_b32 s4, s[0:1], 0x1c
	s_load_b64 s[2:3], s[0:1], 0x8
	s_bfe_u32 s5, ttmp6, 0x4000c
	s_and_b32 s6, ttmp6, 15
	s_add_co_i32 s5, s5, 1
	s_getreg_b32 s7, hwreg(HW_REG_IB_STS2, 6, 4)
	s_mul_i32 s5, ttmp9, s5
	s_delay_alu instid0(SALU_CYCLE_1) | instskip(SKIP_4) | instid1(SALU_CYCLE_1)
	s_add_co_i32 s6, s6, s5
	s_wait_kmcnt 0x0
	s_and_b32 s4, s4, 0xffff
	s_cmp_eq_u32 s7, 0
	s_cselect_b32 s5, ttmp9, s6
	v_mad_u32 v0, s5, s4, v0
	s_delay_alu instid0(VALU_DEP_1)
	v_cmp_gt_i32_e32 vcc_lo, s2, v0
	s_and_saveexec_b32 s2, vcc_lo
	s_cbranch_execz .LBB4_2
; %bb.1:
	s_load_b64 s[0:1], s[0:1], 0x0
	v_mov_b32_e32 v1, s3
	s_wait_kmcnt 0x0
	global_store_b32 v0, v1, s[0:1] scale_offset
.LBB4_2:
	s_endpgm
	.section	.rodata,"a",@progbits
	.p2align	6, 0x0
	.amdhsa_kernel _Z12kernel_resetIfEvPT_iS0_
		.amdhsa_group_segment_fixed_size 0
		.amdhsa_private_segment_fixed_size 0
		.amdhsa_kernarg_size 272
		.amdhsa_user_sgpr_count 2
		.amdhsa_user_sgpr_dispatch_ptr 0
		.amdhsa_user_sgpr_queue_ptr 0
		.amdhsa_user_sgpr_kernarg_segment_ptr 1
		.amdhsa_user_sgpr_dispatch_id 0
		.amdhsa_user_sgpr_kernarg_preload_length 0
		.amdhsa_user_sgpr_kernarg_preload_offset 0
		.amdhsa_user_sgpr_private_segment_size 0
		.amdhsa_wavefront_size32 1
		.amdhsa_uses_dynamic_stack 0
		.amdhsa_enable_private_segment 0
		.amdhsa_system_sgpr_workgroup_id_x 1
		.amdhsa_system_sgpr_workgroup_id_y 0
		.amdhsa_system_sgpr_workgroup_id_z 0
		.amdhsa_system_sgpr_workgroup_info 0
		.amdhsa_system_vgpr_workitem_id 0
		.amdhsa_next_free_vgpr 2
		.amdhsa_next_free_sgpr 8
		.amdhsa_named_barrier_count 0
		.amdhsa_reserve_vcc 1
		.amdhsa_float_round_mode_32 0
		.amdhsa_float_round_mode_16_64 0
		.amdhsa_float_denorm_mode_32 3
		.amdhsa_float_denorm_mode_16_64 3
		.amdhsa_fp16_overflow 0
		.amdhsa_memory_ordered 1
		.amdhsa_forward_progress 1
		.amdhsa_inst_pref_size 1
		.amdhsa_round_robin_scheduling 0
		.amdhsa_exception_fp_ieee_invalid_op 0
		.amdhsa_exception_fp_denorm_src 0
		.amdhsa_exception_fp_ieee_div_zero 0
		.amdhsa_exception_fp_ieee_overflow 0
		.amdhsa_exception_fp_ieee_underflow 0
		.amdhsa_exception_fp_ieee_inexact 0
		.amdhsa_exception_int_div_zero 0
	.end_amdhsa_kernel
	.section	.text._Z12kernel_resetIfEvPT_iS0_,"axG",@progbits,_Z12kernel_resetIfEvPT_iS0_,comdat
.Lfunc_end4:
	.size	_Z12kernel_resetIfEvPT_iS0_, .Lfunc_end4-_Z12kernel_resetIfEvPT_iS0_
                                        ; -- End function
	.set _Z12kernel_resetIfEvPT_iS0_.num_vgpr, 2
	.set _Z12kernel_resetIfEvPT_iS0_.num_agpr, 0
	.set _Z12kernel_resetIfEvPT_iS0_.numbered_sgpr, 8
	.set _Z12kernel_resetIfEvPT_iS0_.num_named_barrier, 0
	.set _Z12kernel_resetIfEvPT_iS0_.private_seg_size, 0
	.set _Z12kernel_resetIfEvPT_iS0_.uses_vcc, 1
	.set _Z12kernel_resetIfEvPT_iS0_.uses_flat_scratch, 0
	.set _Z12kernel_resetIfEvPT_iS0_.has_dyn_sized_stack, 0
	.set _Z12kernel_resetIfEvPT_iS0_.has_recursion, 0
	.set _Z12kernel_resetIfEvPT_iS0_.has_indirect_call, 0
	.section	.AMDGPU.csdata,"",@progbits
; Kernel info:
; codeLenInByte = 128
; TotalNumSgprs: 10
; NumVgprs: 2
; ScratchSize: 0
; MemoryBound: 0
; FloatMode: 240
; IeeeMode: 1
; LDSByteSize: 0 bytes/workgroup (compile time only)
; SGPRBlocks: 0
; VGPRBlocks: 0
; NumSGPRsForWavesPerEU: 10
; NumVGPRsForWavesPerEU: 2
; NamedBarCnt: 0
; Occupancy: 16
; WaveLimiterHint : 0
; COMPUTE_PGM_RSRC2:SCRATCH_EN: 0
; COMPUTE_PGM_RSRC2:USER_SGPR: 2
; COMPUTE_PGM_RSRC2:TRAP_HANDLER: 0
; COMPUTE_PGM_RSRC2:TGID_X_EN: 1
; COMPUTE_PGM_RSRC2:TGID_Y_EN: 0
; COMPUTE_PGM_RSRC2:TGID_Z_EN: 0
; COMPUTE_PGM_RSRC2:TIDIG_COMP_CNT: 0
	.section	.text._Z16kernel_redenergyIfEvPKiiPT_S1_f,"axG",@progbits,_Z16kernel_redenergyIfEvPKiiPT_S1_f,comdat
	.protected	_Z16kernel_redenergyIfEvPKiiPT_S1_f ; -- Begin function _Z16kernel_redenergyIfEvPKiiPT_S1_f
	.globl	_Z16kernel_redenergyIfEvPKiiPT_S1_f
	.p2align	8
	.type	_Z16kernel_redenergyIfEvPKiiPT_S1_f,@function
_Z16kernel_redenergyIfEvPKiiPT_S1_f:    ; @_Z16kernel_redenergyIfEvPKiiPT_S1_f
; %bb.0:
	s_load_b64 s[4:5], s[0:1], 0x34
	s_bfe_u32 s2, ttmp6, 0x40014
	s_bfe_u32 s11, ttmp6, 0x40010
	;; [unrolled: 1-line block ×3, first 2 shown]
	s_lshr_b32 s6, ttmp7, 16
	s_and_b32 s7, ttmp7, 0xffff
	s_add_co_i32 s2, s2, 1
	s_add_co_i32 s11, s11, 1
	s_load_b96 s[8:10], s[0:1], 0x0
	s_add_co_i32 s14, s14, 1
	s_bfe_u32 s3, ttmp6, 0x40008
	s_bfe_u32 s12, ttmp6, 0x40004
	s_mul_i32 s2, s6, s2
	s_mul_i32 s11, s7, s11
	s_and_b32 s13, ttmp6, 15
	s_mul_i32 s14, ttmp9, s14
	s_add_co_i32 s15, s3, s2
	s_add_co_i32 s12, s12, s11
	;; [unrolled: 1-line block ×3, first 2 shown]
	v_bfe_u32 v6, v0, 20, 10
	s_wait_kmcnt 0x0
	s_lshr_b32 s3, s4, 16
	s_and_b32 s11, s4, 0xffff
	s_getreg_b32 s4, hwreg(HW_REG_IB_STS2, 6, 4)
	s_and_b32 s2, s5, 0xffff
	s_cmp_eq_u32 s4, 0
	v_bfe_u32 v4, v0, 10, 10
	s_cselect_b32 s4, s6, s15
	v_and_b32_e32 v0, 0x3ff, v0
	v_mad_u32 v1, s4, s2, v6
	s_cselect_b32 s4, s7, s12
	s_cselect_b32 s12, ttmp9, s13
	v_mad_u32 v2, s4, s3, v4
	s_load_b128 s[4:7], s[0:1], 0x10
	v_mad_u32 v5, s12, s11, v0
	s_wait_xcnt 0x0
	s_load_b32 s0, s[0:1], 0x20
	v_dual_lshlrev_b32 v4, 4, v4 :: v_dual_lshlrev_b32 v6, 7, v6
	s_delay_alu instid0(VALU_DEP_4) | instskip(NEXT) | instid1(VALU_DEP_4)
	v_mul_lo_u32 v3, v1, s10
	v_dual_add_nc_u32 v1, 1, v1 :: v_dual_add_nc_u32 v7, 1, v2
	s_delay_alu instid0(VALU_DEP_1) | instskip(SKIP_1) | instid1(VALU_DEP_3)
	v_cmp_gt_i32_e32 vcc_lo, s10, v1
	v_cndmask_b32_e32 v1, 0, v1, vcc_lo
	v_cmp_gt_i32_e32 vcc_lo, s10, v7
	v_dual_cndmask_b32 v7, 0, v7 :: v_dual_add_nc_u32 v8, v3, v2
	s_delay_alu instid0(VALU_DEP_3) | instskip(SKIP_1) | instid1(VALU_DEP_3)
	v_mad_u32 v1, v1, s10, v2
	v_add_nc_u32_e32 v2, 1, v5
	v_mul_lo_u32 v8, v8, s10
	s_delay_alu instid0(VALU_DEP_2) | instskip(SKIP_1) | instid1(VALU_DEP_1)
	v_cmp_gt_i32_e32 vcc_lo, s10, v2
	v_dual_cndmask_b32 v2, 0, v2 :: v_dual_add_nc_u32 v3, v7, v3
	v_mad_u32 v3, v3, s10, v5
	v_mad_u32 v1, v1, s10, v5
	s_delay_alu instid0(VALU_DEP_3)
	v_dual_add_nc_u32 v5, v8, v5 :: v_dual_add_nc_u32 v2, v8, v2
	s_clause 0x2
	global_load_b32 v7, v2, s[8:9] scale_offset
	global_load_b32 v8, v3, s[8:9] scale_offset
	;; [unrolled: 1-line block ×3, first 2 shown]
	s_wait_kmcnt 0x0
	s_clause 0x1
	global_load_b32 v10, v5, s[6:7] scale_offset
	global_load_b32 v11, v5, s[8:9] scale_offset
	s_wait_loadcnt 0x2
	s_wait_xcnt 0x2
	v_add3_u32 v1, v8, v7, v9
	s_wait_loadcnt 0x1
	v_cvt_f32_i32_e32 v2, v10
	v_mbcnt_lo_u32_b32 v7, -1, 0
	s_wait_loadcnt 0x0
	v_cvt_f32_i32_e32 v5, v11
	v_cvt_f32_i32_e32 v3, v1
	s_delay_alu instid0(VALU_DEP_3) | instskip(SKIP_1) | instid1(VALU_DEP_3)
	v_lshl_or_b32 v1, v7, 2, 64
	v_cmp_gt_u32_e32 vcc_lo, 24, v7
	v_fmac_f32_e32 v3, s0, v2
	s_mov_b32 s0, exec_lo
	s_delay_alu instid0(VALU_DEP_1) | instskip(SKIP_3) | instid1(VALU_DEP_2)
	v_mul_f32_e64 v2, v3, -v5
	ds_bpermute_b32 v8, v1, v2
	v_cndmask_b32_e64 v2, 0, 8, vcc_lo
	v_cmp_gt_u32_e32 vcc_lo, 28, v7
	v_add_lshl_u32 v2, v2, v7, 2
	s_wait_dscnt 0x0
	v_fma_f32 v5, v3, -v5, v8
	v_cndmask_b32_e64 v3, 0, 4, vcc_lo
	v_cmp_gt_u32_e32 vcc_lo, 30, v7
	ds_bpermute_b32 v8, v2, v5
	v_add_lshl_u32 v3, v3, v7, 2
	s_wait_dscnt 0x0
	v_add_f32_e32 v8, v5, v8
	v_cndmask_b32_e64 v5, 0, 2, vcc_lo
	v_cmp_ne_u32_e32 vcc_lo, 31, v7
	ds_bpermute_b32 v9, v3, v8
	v_add_lshl_u32 v5, v5, v7, 2
	v_add_co_ci_u32_e64 v7, null, 0, v7, vcc_lo
	s_wait_dscnt 0x0
	s_delay_alu instid0(VALU_DEP_1)
	v_dual_add_f32 v8, v8, v9 :: v_dual_lshlrev_b32 v7, 2, v7
	ds_bpermute_b32 v9, v5, v8
	s_wait_dscnt 0x0
	v_add_f32_e32 v8, v8, v9
	v_add_nc_u32_e32 v9, v4, v0
	ds_bpermute_b32 v11, v7, v8
	v_dual_add_nc_u32 v9, v9, v6 :: v_dual_bitop2_b32 v10, 31, v9 bitop3:0x40
	s_delay_alu instid0(VALU_DEP_1)
	v_cmpx_eq_u32_e32 0, v10
	s_cbranch_execz .LBB5_2
; %bb.1:
	s_wait_dscnt 0x0
	s_delay_alu instid0(VALU_DEP_2)
	v_dual_add_f32 v8, v8, v11 :: v_dual_lshrrev_b32 v11, 3, v9
	ds_store_b32 v11, v8
.LBB5_2:
	s_or_b32 exec_lo, exec_lo, s0
	s_mul_i32 s0, s3, s11
	v_mov_b32_e32 v8, 0
	s_mul_i32 s0, s0, s2
	s_wait_dscnt 0x0
	s_lshr_b32 s0, s0, 5
	s_barrier_signal -1
	v_cmp_gt_u32_e32 vcc_lo, s0, v9
	s_barrier_wait -1
	s_and_saveexec_b32 s0, vcc_lo
; %bb.3:
	v_lshlrev_b32_e32 v8, 2, v10
	ds_load_b32 v8, v8
; %bb.4:
	s_or_b32 exec_lo, exec_lo, s0
	s_delay_alu instid0(SALU_CYCLE_1)
	s_mov_b32 s0, exec_lo
	v_cmpx_gt_u32_e32 32, v9
	s_cbranch_execz .LBB5_6
; %bb.5:
	s_wait_dscnt 0x0
	ds_bpermute_b32 v1, v1, v8
	s_wait_dscnt 0x0
	v_add_f32_e32 v1, v8, v1
	ds_bpermute_b32 v2, v2, v1
	s_wait_dscnt 0x0
	v_add_f32_e32 v1, v1, v2
	;; [unrolled: 3-line block ×5, first 2 shown]
.LBB5_6:
	s_or_b32 exec_lo, exec_lo, s0
	v_add_nc_u32_e32 v1, v6, v4
	s_mov_b32 s0, exec_lo
	s_delay_alu instid0(VALU_DEP_1) | instskip(NEXT) | instid1(VALU_DEP_1)
	v_or_b32_e32 v0, v1, v0
	v_cmpx_eq_u32_e32 0, v0
	s_cbranch_execz .LBB5_11
; %bb.7:
	s_mov_b32 s1, exec_lo
	s_brev_b32 s0, 1
.LBB5_8:                                ; =>This Inner Loop Header: Depth=1
	s_ctz_i32_b32 s2, s1
	s_wait_dscnt 0x0
	v_readlane_b32 s3, v8, s2
	s_lshl_b32 s2, 1, s2
	s_delay_alu instid0(SALU_CYCLE_1) | instskip(NEXT) | instid1(SALU_CYCLE_1)
	s_and_not1_b32 s1, s1, s2
	s_cmp_lg_u32 s1, 0
	s_add_f32 s0, s0, s3
	s_cbranch_scc1 .LBB5_8
; %bb.9:
	v_mbcnt_lo_u32_b32 v0, exec_lo, 0
	s_mov_b32 s1, exec_lo
	s_delay_alu instid0(VALU_DEP_1)
	v_cmpx_eq_u32_e32 0, v0
	s_xor_b32 s1, exec_lo, s1
	s_cbranch_execz .LBB5_11
; %bb.10:
	v_dual_mov_b32 v0, 0 :: v_dual_mov_b32 v1, s0
	global_atomic_add_f32 v0, v1, s[4:5] scope:SCOPE_DEV
.LBB5_11:
	s_endpgm
	.section	.rodata,"a",@progbits
	.p2align	6, 0x0
	.amdhsa_kernel _Z16kernel_redenergyIfEvPKiiPT_S1_f
		.amdhsa_group_segment_fixed_size 128
		.amdhsa_private_segment_fixed_size 0
		.amdhsa_kernarg_size 296
		.amdhsa_user_sgpr_count 2
		.amdhsa_user_sgpr_dispatch_ptr 0
		.amdhsa_user_sgpr_queue_ptr 0
		.amdhsa_user_sgpr_kernarg_segment_ptr 1
		.amdhsa_user_sgpr_dispatch_id 0
		.amdhsa_user_sgpr_kernarg_preload_length 0
		.amdhsa_user_sgpr_kernarg_preload_offset 0
		.amdhsa_user_sgpr_private_segment_size 0
		.amdhsa_wavefront_size32 1
		.amdhsa_uses_dynamic_stack 0
		.amdhsa_enable_private_segment 0
		.amdhsa_system_sgpr_workgroup_id_x 1
		.amdhsa_system_sgpr_workgroup_id_y 1
		.amdhsa_system_sgpr_workgroup_id_z 1
		.amdhsa_system_sgpr_workgroup_info 0
		.amdhsa_system_vgpr_workitem_id 2
		.amdhsa_next_free_vgpr 12
		.amdhsa_next_free_sgpr 16
		.amdhsa_named_barrier_count 0
		.amdhsa_reserve_vcc 1
		.amdhsa_float_round_mode_32 0
		.amdhsa_float_round_mode_16_64 0
		.amdhsa_float_denorm_mode_32 3
		.amdhsa_float_denorm_mode_16_64 3
		.amdhsa_fp16_overflow 0
		.amdhsa_memory_ordered 1
		.amdhsa_forward_progress 1
		.amdhsa_inst_pref_size 8
		.amdhsa_round_robin_scheduling 0
		.amdhsa_exception_fp_ieee_invalid_op 0
		.amdhsa_exception_fp_denorm_src 0
		.amdhsa_exception_fp_ieee_div_zero 0
		.amdhsa_exception_fp_ieee_overflow 0
		.amdhsa_exception_fp_ieee_underflow 0
		.amdhsa_exception_fp_ieee_inexact 0
		.amdhsa_exception_int_div_zero 0
	.end_amdhsa_kernel
	.section	.text._Z16kernel_redenergyIfEvPKiiPT_S1_f,"axG",@progbits,_Z16kernel_redenergyIfEvPKiiPT_S1_f,comdat
.Lfunc_end5:
	.size	_Z16kernel_redenergyIfEvPKiiPT_S1_f, .Lfunc_end5-_Z16kernel_redenergyIfEvPKiiPT_S1_f
                                        ; -- End function
	.set _Z16kernel_redenergyIfEvPKiiPT_S1_f.num_vgpr, 12
	.set _Z16kernel_redenergyIfEvPKiiPT_S1_f.num_agpr, 0
	.set _Z16kernel_redenergyIfEvPKiiPT_S1_f.numbered_sgpr, 16
	.set _Z16kernel_redenergyIfEvPKiiPT_S1_f.num_named_barrier, 0
	.set _Z16kernel_redenergyIfEvPKiiPT_S1_f.private_seg_size, 0
	.set _Z16kernel_redenergyIfEvPKiiPT_S1_f.uses_vcc, 1
	.set _Z16kernel_redenergyIfEvPKiiPT_S1_f.uses_flat_scratch, 0
	.set _Z16kernel_redenergyIfEvPKiiPT_S1_f.has_dyn_sized_stack, 0
	.set _Z16kernel_redenergyIfEvPKiiPT_S1_f.has_recursion, 0
	.set _Z16kernel_redenergyIfEvPKiiPT_S1_f.has_indirect_call, 0
	.section	.AMDGPU.csdata,"",@progbits
; Kernel info:
; codeLenInByte = 992
; TotalNumSgprs: 18
; NumVgprs: 12
; ScratchSize: 0
; MemoryBound: 0
; FloatMode: 240
; IeeeMode: 1
; LDSByteSize: 128 bytes/workgroup (compile time only)
; SGPRBlocks: 0
; VGPRBlocks: 0
; NumSGPRsForWavesPerEU: 18
; NumVGPRsForWavesPerEU: 12
; NamedBarCnt: 0
; Occupancy: 16
; WaveLimiterHint : 0
; COMPUTE_PGM_RSRC2:SCRATCH_EN: 0
; COMPUTE_PGM_RSRC2:USER_SGPR: 2
; COMPUTE_PGM_RSRC2:TRAP_HANDLER: 0
; COMPUTE_PGM_RSRC2:TGID_X_EN: 1
; COMPUTE_PGM_RSRC2:TGID_Y_EN: 1
; COMPUTE_PGM_RSRC2:TGID_Z_EN: 1
; COMPUTE_PGM_RSRC2:TIDIG_COMP_CNT: 2
	.text
	.p2alignl 7, 3214868480
	.fill 96, 4, 3214868480
	.section	.AMDGPU.gpr_maximums,"",@progbits
	.set amdgpu.max_num_vgpr, 0
	.set amdgpu.max_num_agpr, 0
	.set amdgpu.max_num_sgpr, 0
	.text
	.type	__hip_cuid_cbd9c6a7ead9a226,@object ; @__hip_cuid_cbd9c6a7ead9a226
	.section	.bss,"aw",@nobits
	.globl	__hip_cuid_cbd9c6a7ead9a226
__hip_cuid_cbd9c6a7ead9a226:
	.byte	0                               ; 0x0
	.size	__hip_cuid_cbd9c6a7ead9a226, 1

	.ident	"AMD clang version 22.0.0git (https://github.com/RadeonOpenCompute/llvm-project roc-7.2.4 26084 f58b06dce1f9c15707c5f808fd002e18c2accf7e)"
	.section	".note.GNU-stack","",@progbits
	.addrsig
	.addrsig_sym __hip_cuid_cbd9c6a7ead9a226
	.amdgpu_metadata
---
amdhsa.kernels:
  - .args:
      - .address_space:  global
        .offset:         0
        .size:           8
        .value_kind:     global_buffer
      - .address_space:  global
        .offset:         8
        .size:           8
        .value_kind:     global_buffer
      - .offset:         16
        .size:           4
        .value_kind:     by_value
      - .offset:         24
        .size:           8
        .value_kind:     by_value
      - .offset:         32
        .size:           8
        .value_kind:     by_value
      - .offset:         40
        .size:           4
        .value_kind:     hidden_block_count_x
      - .offset:         44
        .size:           4
        .value_kind:     hidden_block_count_y
      - .offset:         48
        .size:           4
        .value_kind:     hidden_block_count_z
      - .offset:         52
        .size:           2
        .value_kind:     hidden_group_size_x
      - .offset:         54
        .size:           2
        .value_kind:     hidden_group_size_y
      - .offset:         56
        .size:           2
        .value_kind:     hidden_group_size_z
      - .offset:         58
        .size:           2
        .value_kind:     hidden_remainder_x
      - .offset:         60
        .size:           2
        .value_kind:     hidden_remainder_y
      - .offset:         62
        .size:           2
        .value_kind:     hidden_remainder_z
      - .offset:         80
        .size:           8
        .value_kind:     hidden_global_offset_x
      - .offset:         88
        .size:           8
        .value_kind:     hidden_global_offset_y
      - .offset:         96
        .size:           8
        .value_kind:     hidden_global_offset_z
      - .offset:         104
        .size:           2
        .value_kind:     hidden_grid_dims
    .group_segment_fixed_size: 0
    .kernarg_segment_align: 8
    .kernarg_segment_size: 296
    .language:       OpenCL C
    .language_version:
      - 2
      - 0
    .max_flat_workgroup_size: 1024
    .name:           _Z19kernel_gpupcg_setupPmS_imm
    .private_segment_fixed_size: 0
    .sgpr_count:     14
    .sgpr_spill_count: 0
    .symbol:         _Z19kernel_gpupcg_setupPmS_imm.kd
    .uniform_work_group_size: 1
    .uses_dynamic_stack: false
    .vgpr_count:     6
    .vgpr_spill_count: 0
    .wavefront_size: 32
  - .args:
      - .offset:         0
        .size:           4
        .value_kind:     by_value
      - .offset:         4
        .size:           4
        .value_kind:     by_value
      - .address_space:  global
        .offset:         8
        .size:           8
        .value_kind:     global_buffer
      - .address_space:  global
        .offset:         16
        .size:           8
        .value_kind:     global_buffer
      - .offset:         24
        .size:           4
        .value_kind:     by_value
      - .offset:         28
        .size:           4
        .value_kind:     by_value
      - .address_space:  global
        .offset:         32
        .size:           8
        .value_kind:     global_buffer
      - .address_space:  global
        .offset:         40
        .size:           8
        .value_kind:     global_buffer
      - .offset:         48
        .size:           4
        .value_kind:     by_value
      - .offset:         56
        .size:           4
        .value_kind:     hidden_block_count_x
      - .offset:         60
        .size:           4
        .value_kind:     hidden_block_count_y
      - .offset:         64
        .size:           4
        .value_kind:     hidden_block_count_z
      - .offset:         68
        .size:           2
        .value_kind:     hidden_group_size_x
      - .offset:         70
        .size:           2
        .value_kind:     hidden_group_size_y
      - .offset:         72
        .size:           2
        .value_kind:     hidden_group_size_z
      - .offset:         74
        .size:           2
        .value_kind:     hidden_remainder_x
      - .offset:         76
        .size:           2
        .value_kind:     hidden_remainder_y
      - .offset:         78
        .size:           2
        .value_kind:     hidden_remainder_z
      - .offset:         96
        .size:           8
        .value_kind:     hidden_global_offset_x
      - .offset:         104
        .size:           8
        .value_kind:     hidden_global_offset_y
      - .offset:         112
        .size:           8
        .value_kind:     hidden_global_offset_z
      - .offset:         120
        .size:           2
        .value_kind:     hidden_grid_dims
    .group_segment_fixed_size: 4320
    .kernarg_segment_align: 8
    .kernarg_segment_size: 312
    .language:       OpenCL C
    .language_version:
      - 2
      - 0
    .max_flat_workgroup_size: 1024
    .name:           _Z17kernel_metropolisiiPiPKiffPmS2_i
    .private_segment_fixed_size: 0
    .sgpr_count:     17
    .sgpr_spill_count: 0
    .symbol:         _Z17kernel_metropolisiiPiPKiffPmS2_i.kd
    .uniform_work_group_size: 1
    .uses_dynamic_stack: false
    .vgpr_count:     29
    .vgpr_spill_count: 0
    .wavefront_size: 32
  - .args:
      - .address_space:  global
        .offset:         0
        .size:           8
        .value_kind:     global_buffer
      - .offset:         8
        .size:           4
        .value_kind:     by_value
      - .address_space:  global
        .offset:         16
        .size:           8
        .value_kind:     global_buffer
      - .address_space:  global
        .offset:         24
        .size:           8
        .value_kind:     global_buffer
      - .offset:         32
        .size:           4
        .value_kind:     hidden_block_count_x
      - .offset:         36
        .size:           4
        .value_kind:     hidden_block_count_y
      - .offset:         40
        .size:           4
        .value_kind:     hidden_block_count_z
      - .offset:         44
        .size:           2
        .value_kind:     hidden_group_size_x
      - .offset:         46
        .size:           2
        .value_kind:     hidden_group_size_y
      - .offset:         48
        .size:           2
        .value_kind:     hidden_group_size_z
      - .offset:         50
        .size:           2
        .value_kind:     hidden_remainder_x
      - .offset:         52
        .size:           2
        .value_kind:     hidden_remainder_y
      - .offset:         54
        .size:           2
        .value_kind:     hidden_remainder_z
      - .offset:         72
        .size:           8
        .value_kind:     hidden_global_offset_x
      - .offset:         80
        .size:           8
        .value_kind:     hidden_global_offset_y
      - .offset:         88
        .size:           8
        .value_kind:     hidden_global_offset_z
      - .offset:         96
        .size:           2
        .value_kind:     hidden_grid_dims
    .group_segment_fixed_size: 0
    .kernarg_segment_align: 8
    .kernarg_segment_size: 288
    .language:       OpenCL C
    .language_version:
      - 2
      - 0
    .max_flat_workgroup_size: 1024
    .name:           _Z26kernel_reset_random_gpupcgPiiPmS0_
    .private_segment_fixed_size: 0
    .sgpr_count:     12
    .sgpr_spill_count: 0
    .symbol:         _Z26kernel_reset_random_gpupcgPiiPmS0_.kd
    .uniform_work_group_size: 1
    .uses_dynamic_stack: false
    .vgpr_count:     15
    .vgpr_spill_count: 0
    .wavefront_size: 32
  - .args:
      - .address_space:  global
        .offset:         0
        .size:           8
        .value_kind:     global_buffer
      - .offset:         8
        .size:           4
        .value_kind:     by_value
      - .offset:         12
        .size:           4
        .value_kind:     by_value
      - .offset:         16
        .size:           4
        .value_kind:     hidden_block_count_x
      - .offset:         20
        .size:           4
        .value_kind:     hidden_block_count_y
      - .offset:         24
        .size:           4
        .value_kind:     hidden_block_count_z
      - .offset:         28
        .size:           2
        .value_kind:     hidden_group_size_x
      - .offset:         30
        .size:           2
        .value_kind:     hidden_group_size_y
      - .offset:         32
        .size:           2
        .value_kind:     hidden_group_size_z
      - .offset:         34
        .size:           2
        .value_kind:     hidden_remainder_x
      - .offset:         36
        .size:           2
        .value_kind:     hidden_remainder_y
      - .offset:         38
        .size:           2
        .value_kind:     hidden_remainder_z
      - .offset:         56
        .size:           8
        .value_kind:     hidden_global_offset_x
      - .offset:         64
        .size:           8
        .value_kind:     hidden_global_offset_y
      - .offset:         72
        .size:           8
        .value_kind:     hidden_global_offset_z
      - .offset:         80
        .size:           2
        .value_kind:     hidden_grid_dims
    .group_segment_fixed_size: 0
    .kernarg_segment_align: 8
    .kernarg_segment_size: 272
    .language:       OpenCL C
    .language_version:
      - 2
      - 0
    .max_flat_workgroup_size: 1024
    .name:           _Z12kernel_resetIiEvPT_iS0_
    .private_segment_fixed_size: 0
    .sgpr_count:     10
    .sgpr_spill_count: 0
    .symbol:         _Z12kernel_resetIiEvPT_iS0_.kd
    .uniform_work_group_size: 1
    .uses_dynamic_stack: false
    .vgpr_count:     2
    .vgpr_spill_count: 0
    .wavefront_size: 32
  - .args:
      - .address_space:  global
        .offset:         0
        .size:           8
        .value_kind:     global_buffer
      - .offset:         8
        .size:           4
        .value_kind:     by_value
      - .offset:         12
        .size:           4
        .value_kind:     by_value
      - .offset:         16
        .size:           4
        .value_kind:     hidden_block_count_x
      - .offset:         20
        .size:           4
        .value_kind:     hidden_block_count_y
      - .offset:         24
        .size:           4
        .value_kind:     hidden_block_count_z
      - .offset:         28
        .size:           2
        .value_kind:     hidden_group_size_x
      - .offset:         30
        .size:           2
        .value_kind:     hidden_group_size_y
      - .offset:         32
        .size:           2
        .value_kind:     hidden_group_size_z
      - .offset:         34
        .size:           2
        .value_kind:     hidden_remainder_x
      - .offset:         36
        .size:           2
        .value_kind:     hidden_remainder_y
      - .offset:         38
        .size:           2
        .value_kind:     hidden_remainder_z
      - .offset:         56
        .size:           8
        .value_kind:     hidden_global_offset_x
      - .offset:         64
        .size:           8
        .value_kind:     hidden_global_offset_y
      - .offset:         72
        .size:           8
        .value_kind:     hidden_global_offset_z
      - .offset:         80
        .size:           2
        .value_kind:     hidden_grid_dims
    .group_segment_fixed_size: 0
    .kernarg_segment_align: 8
    .kernarg_segment_size: 272
    .language:       OpenCL C
    .language_version:
      - 2
      - 0
    .max_flat_workgroup_size: 1024
    .name:           _Z12kernel_resetIfEvPT_iS0_
    .private_segment_fixed_size: 0
    .sgpr_count:     10
    .sgpr_spill_count: 0
    .symbol:         _Z12kernel_resetIfEvPT_iS0_.kd
    .uniform_work_group_size: 1
    .uses_dynamic_stack: false
    .vgpr_count:     2
    .vgpr_spill_count: 0
    .wavefront_size: 32
  - .args:
      - .address_space:  global
        .offset:         0
        .size:           8
        .value_kind:     global_buffer
      - .offset:         8
        .size:           4
        .value_kind:     by_value
      - .address_space:  global
        .offset:         16
        .size:           8
        .value_kind:     global_buffer
      - .address_space:  global
        .offset:         24
        .size:           8
        .value_kind:     global_buffer
      - .offset:         32
        .size:           4
        .value_kind:     by_value
      - .offset:         40
        .size:           4
        .value_kind:     hidden_block_count_x
      - .offset:         44
        .size:           4
        .value_kind:     hidden_block_count_y
      - .offset:         48
        .size:           4
        .value_kind:     hidden_block_count_z
      - .offset:         52
        .size:           2
        .value_kind:     hidden_group_size_x
      - .offset:         54
        .size:           2
        .value_kind:     hidden_group_size_y
      - .offset:         56
        .size:           2
        .value_kind:     hidden_group_size_z
      - .offset:         58
        .size:           2
        .value_kind:     hidden_remainder_x
      - .offset:         60
        .size:           2
        .value_kind:     hidden_remainder_y
      - .offset:         62
        .size:           2
        .value_kind:     hidden_remainder_z
      - .offset:         80
        .size:           8
        .value_kind:     hidden_global_offset_x
      - .offset:         88
        .size:           8
        .value_kind:     hidden_global_offset_y
      - .offset:         96
        .size:           8
        .value_kind:     hidden_global_offset_z
      - .offset:         104
        .size:           2
        .value_kind:     hidden_grid_dims
    .group_segment_fixed_size: 128
    .kernarg_segment_align: 8
    .kernarg_segment_size: 296
    .language:       OpenCL C
    .language_version:
      - 2
      - 0
    .max_flat_workgroup_size: 1024
    .name:           _Z16kernel_redenergyIfEvPKiiPT_S1_f
    .private_segment_fixed_size: 0
    .sgpr_count:     18
    .sgpr_spill_count: 0
    .symbol:         _Z16kernel_redenergyIfEvPKiiPT_S1_f.kd
    .uniform_work_group_size: 1
    .uses_dynamic_stack: false
    .vgpr_count:     12
    .vgpr_spill_count: 0
    .wavefront_size: 32
amdhsa.target:   amdgcn-amd-amdhsa--gfx1250
amdhsa.version:
  - 1
  - 2
...

	.end_amdgpu_metadata
